;; amdgpu-corpus repo=ROCm/rocFFT kind=compiled arch=gfx1030 opt=O3
	.text
	.amdgcn_target "amdgcn-amd-amdhsa--gfx1030"
	.amdhsa_code_object_version 6
	.protected	fft_rtc_fwd_len100_factors_10_10_wgs_190_tpt_10_halfLds_dim1_sp_op_CI_CI_unitstride_sbrr_R2C_dirReg ; -- Begin function fft_rtc_fwd_len100_factors_10_10_wgs_190_tpt_10_halfLds_dim1_sp_op_CI_CI_unitstride_sbrr_R2C_dirReg
	.globl	fft_rtc_fwd_len100_factors_10_10_wgs_190_tpt_10_halfLds_dim1_sp_op_CI_CI_unitstride_sbrr_R2C_dirReg
	.p2align	8
	.type	fft_rtc_fwd_len100_factors_10_10_wgs_190_tpt_10_halfLds_dim1_sp_op_CI_CI_unitstride_sbrr_R2C_dirReg,@function
fft_rtc_fwd_len100_factors_10_10_wgs_190_tpt_10_halfLds_dim1_sp_op_CI_CI_unitstride_sbrr_R2C_dirReg: ; @fft_rtc_fwd_len100_factors_10_10_wgs_190_tpt_10_halfLds_dim1_sp_op_CI_CI_unitstride_sbrr_R2C_dirReg
; %bb.0:
	v_mul_u32_u24_e32 v1, 0x199a, v0
	s_load_dwordx2 s[0:1], s[4:5], 0x20
                                        ; implicit-def: $vgpr6
                                        ; implicit-def: $vgpr7
	v_lshrrev_b32_e32 v2, 16, v1
	v_mad_u64_u32 v[4:5], null, s6, 19, v[2:3]
	s_load_dwordx2 s[6:7], s[4:5], 0x0
	v_mov_b32_e32 v5, 0
	v_mul_hi_u32 v1, 0xaf286bcb, v4
	s_waitcnt lgkmcnt(0)
	v_cmp_gt_u64_e32 vcc_lo, s[0:1], v[4:5]
	v_cmp_le_u64_e64 s0, s[0:1], v[4:5]
	v_sub_nc_u32_e32 v3, v4, v1
	v_lshrrev_b32_e32 v3, 1, v3
	v_add_nc_u32_e32 v1, v3, v1
	v_lshrrev_b32_e32 v1, 4, v1
	v_mul_lo_u32 v1, v1, 19
	v_sub_nc_u32_e32 v3, v4, v1
                                        ; implicit-def: $vgpr1
	s_and_saveexec_b32 s1, s0
	s_xor_b32 s0, exec_lo, s1
; %bb.1:
	v_mov_b32_e32 v1, 0x199a
                                        ; implicit-def: $vgpr2
	v_mul_u32_u24_sdwa v1, v0, v1 dst_sel:DWORD dst_unused:UNUSED_PAD src0_sel:WORD_0 src1_sel:DWORD
	v_lshrrev_b32_e32 v1, 16, v1
	v_mul_lo_u16 v1, v1, 10
	v_sub_nc_u16 v6, v0, v1
                                        ; implicit-def: $vgpr0
	v_and_b32_e32 v1, 0xffff, v6
	v_or_b32_e32 v7, 0x50, v1
; %bb.2:
	s_or_saveexec_b32 s1, s0
	s_load_dwordx2 s[2:3], s[4:5], 0x18
	v_mul_u32_u24_e32 v3, 0x65, v3
	v_lshlrev_b32_e32 v5, 3, v3
                                        ; implicit-def: $vgpr3
	s_xor_b32 exec_lo, exec_lo, s1
	s_cbranch_execz .LBB0_4
; %bb.3:
	s_clause 0x1
	s_load_dwordx2 s[8:9], s[4:5], 0x10
	s_load_dwordx2 s[10:11], s[4:5], 0x50
	s_waitcnt lgkmcnt(0)
	s_load_dwordx2 s[8:9], s[8:9], 0x8
	s_waitcnt lgkmcnt(0)
	v_mad_u64_u32 v[7:8], null, s8, v4, 0
	v_mov_b32_e32 v1, v8
	v_mad_u64_u32 v[8:9], null, s9, v4, v[1:2]
	v_mul_lo_u16 v1, v2, 10
	v_sub_nc_u16 v6, v0, v1
	v_lshlrev_b64 v[2:3], 3, v[7:8]
	v_and_b32_e32 v1, 0xffff, v6
	v_add_co_u32 v2, s0, s10, v2
	v_add_co_ci_u32_e64 v3, s0, s11, v3, s0
	v_lshlrev_b32_e32 v0, 3, v1
	v_or_b32_e32 v7, 0x50, v1
	v_add_co_u32 v2, s0, v2, v0
	v_add_co_ci_u32_e64 v3, s0, 0, v3, s0
	s_clause 0x9
	global_load_dwordx2 v[8:9], v[2:3], off
	global_load_dwordx2 v[10:11], v[2:3], off offset:80
	global_load_dwordx2 v[12:13], v[2:3], off offset:160
	;; [unrolled: 1-line block ×9, first 2 shown]
	v_add3_u32 v0, 0, v5, v0
	v_mov_b32_e32 v3, v1
	s_waitcnt vmcnt(8)
	ds_write2_b64 v0, v[8:9], v[10:11] offset1:10
	s_waitcnt vmcnt(6)
	ds_write2_b64 v0, v[12:13], v[14:15] offset0:20 offset1:30
	s_waitcnt vmcnt(4)
	ds_write2_b64 v0, v[16:17], v[18:19] offset0:40 offset1:50
	;; [unrolled: 2-line block ×4, first 2 shown]
.LBB0_4:
	s_or_b32 exec_lo, exec_lo, s1
	v_lshlrev_b32_e32 v2, 3, v1
	v_add_nc_u32_e32 v0, 0, v5
	s_waitcnt lgkmcnt(0)
	s_load_dwordx2 s[2:3], s[2:3], 0x8
	s_waitcnt lgkmcnt(0)
	s_barrier
	v_add3_u32 v5, 0, v2, v5
	v_add_nc_u32_e32 v9, v0, v2
	buffer_gl0_inv
	v_lshl_add_u32 v46, v7, 3, v0
	v_cmp_ne_u16_e64 s0, 0, v6
	ds_read2_b64 v[10:13], v5 offset0:10 offset1:20
	ds_read2_b64 v[14:17], v5 offset0:30 offset1:40
	ds_read_b64 v[26:27], v9
	ds_read2_b64 v[18:21], v5 offset0:50 offset1:60
	ds_read2_b64 v[22:25], v5 offset0:70 offset1:80
	ds_read_b64 v[28:29], v5 offset:720
	s_waitcnt lgkmcnt(0)
	s_barrier
	buffer_gl0_inv
	v_sub_f32_e32 v33, v12, v16
	v_add_f32_e32 v8, v26, v12
	v_add_f32_e32 v30, v16, v20
	v_sub_f32_e32 v31, v13, v25
	v_sub_f32_e32 v34, v24, v20
	v_add_f32_e32 v35, v12, v24
	v_sub_f32_e32 v36, v16, v12
	v_sub_f32_e32 v37, v20, v24
	v_add_f32_e32 v38, v27, v13
	v_fma_f32 v30, -0.5, v30, v26
	v_sub_f32_e32 v32, v17, v21
	v_add_f32_e32 v39, v17, v21
	v_sub_f32_e32 v40, v16, v20
	v_add_f32_e32 v8, v8, v16
	v_add_f32_e32 v16, v33, v34
	v_fma_f32 v26, -0.5, v35, v26
	v_add_f32_e32 v33, v36, v37
	v_add_f32_e32 v34, v38, v17
	v_fmamk_f32 v36, v31, 0x3f737871, v30
	v_fmac_f32_e32 v30, 0xbf737871, v31
	v_sub_f32_e32 v12, v12, v24
	v_add_f32_e32 v42, v13, v25
	v_fma_f32 v35, -0.5, v39, v27
	v_add_f32_e32 v8, v8, v20
	v_fmamk_f32 v37, v32, 0xbf737871, v26
	v_fmac_f32_e32 v26, 0x3f737871, v32
	v_add_f32_e32 v20, v34, v21
	v_fmac_f32_e32 v36, 0x3f167918, v32
	v_fmac_f32_e32 v30, 0xbf167918, v32
	v_sub_f32_e32 v41, v13, v17
	v_fmamk_f32 v34, v12, 0xbf737871, v35
	v_fmac_f32_e32 v37, 0x3f167918, v31
	v_fmac_f32_e32 v26, 0xbf167918, v31
	;; [unrolled: 1-line block ×4, first 2 shown]
	v_sub_f32_e32 v16, v25, v21
	v_fmac_f32_e32 v27, -0.5, v42
	v_add_f32_e32 v31, v20, v25
	v_fmac_f32_e32 v35, 0x3f737871, v12
	v_sub_f32_e32 v13, v17, v13
	v_sub_f32_e32 v17, v21, v25
	v_add_f32_e32 v20, v10, v14
	v_fmac_f32_e32 v34, 0xbf167918, v40
	v_add_f32_e32 v16, v41, v16
	v_fmamk_f32 v32, v40, 0x3f737871, v27
	v_fmac_f32_e32 v35, 0x3f167918, v40
	v_add_f32_e32 v13, v13, v17
	v_fmac_f32_e32 v27, 0xbf737871, v40
	v_add_f32_e32 v17, v20, v18
	v_add_f32_e32 v20, v18, v22
	v_fmac_f32_e32 v34, 0x3e9e377a, v16
	v_fmac_f32_e32 v32, 0xbf167918, v12
	;; [unrolled: 1-line block ×4, first 2 shown]
	v_add_f32_e32 v12, v17, v22
	v_fma_f32 v17, -0.5, v20, v10
	v_add_f32_e32 v16, v14, v28
	v_sub_f32_e32 v20, v15, v29
	v_add_f32_e32 v8, v8, v24
	v_fmac_f32_e32 v32, 0x3e9e377a, v13
	v_fmac_f32_e32 v27, 0x3e9e377a, v13
	v_add_f32_e32 v21, v12, v28
	v_sub_f32_e32 v12, v19, v23
	v_fma_f32 v13, -0.5, v16, v10
	v_fmamk_f32 v24, v20, 0x3f737871, v17
	v_sub_f32_e32 v10, v14, v18
	v_sub_f32_e32 v16, v28, v22
	v_fmac_f32_e32 v17, 0xbf737871, v20
	v_fmac_f32_e32 v37, 0x3e9e377a, v33
	v_fmac_f32_e32 v24, 0x3f167918, v12
	v_fmac_f32_e32 v26, 0x3e9e377a, v33
	v_add_f32_e32 v10, v10, v16
	v_fmac_f32_e32 v17, 0xbf167918, v12
	v_fmamk_f32 v25, v12, 0xbf737871, v13
	v_sub_f32_e32 v33, v18, v14
	v_sub_f32_e32 v38, v22, v28
	v_fmac_f32_e32 v13, 0x3f737871, v12
	v_fmac_f32_e32 v24, 0x3e9e377a, v10
	v_fmac_f32_e32 v17, 0x3e9e377a, v10
	v_add_f32_e32 v10, v19, v23
	v_add_f32_e32 v12, v15, v29
	v_fmac_f32_e32 v25, 0x3f167918, v20
	v_add_f32_e32 v16, v33, v38
	v_fmac_f32_e32 v13, 0xbf167918, v20
	v_add_f32_e32 v20, v11, v15
	v_fma_f32 v33, -0.5, v10, v11
	v_sub_f32_e32 v10, v14, v28
	v_sub_f32_e32 v14, v18, v22
	v_fma_f32 v11, -0.5, v12, v11
	v_fmac_f32_e32 v25, 0x3e9e377a, v16
	v_fmac_f32_e32 v13, 0x3e9e377a, v16
	v_sub_f32_e32 v16, v15, v19
	v_sub_f32_e32 v15, v19, v15
	v_fmamk_f32 v22, v14, 0x3f737871, v11
	v_sub_f32_e32 v18, v23, v29
	v_add_f32_e32 v12, v20, v19
	v_fmamk_f32 v20, v10, 0xbf737871, v33
	v_sub_f32_e32 v19, v29, v23
	v_fmac_f32_e32 v11, 0xbf737871, v14
	v_fmac_f32_e32 v22, 0xbf167918, v10
	v_add_f32_e32 v15, v15, v18
	v_fmac_f32_e32 v33, 0x3f737871, v10
	v_add_f32_e32 v16, v16, v19
	v_fmac_f32_e32 v11, 0x3f167918, v10
	v_fmac_f32_e32 v20, 0xbf167918, v14
	;; [unrolled: 1-line block ×4, first 2 shown]
	v_add_f32_e32 v10, v12, v23
	v_fmac_f32_e32 v11, 0x3e9e377a, v15
	v_mul_f32_e32 v12, 0x3e9e377a, v13
	v_mul_f32_e32 v28, 0x3f737871, v22
	v_fmac_f32_e32 v33, 0x3e9e377a, v16
	v_mul_f32_e32 v15, 0x3f4f1bbd, v17
	v_fmac_f32_e32 v20, 0x3e9e377a, v16
	;; [unrolled: 2-line block ×3, first 2 shown]
	v_fma_f32 v38, 0x3f737871, v11, -v12
	v_fma_f32 v39, 0x3f167918, v33, -v15
	v_mul_f32_e32 v40, 0xbf167918, v24
	v_mul_f32_e32 v11, 0x3e9e377a, v11
	;; [unrolled: 1-line block ×4, first 2 shown]
	v_add_f32_e32 v29, v10, v29
	v_fmac_f32_e32 v23, 0x3f167918, v20
	v_add_f32_e32 v14, v37, v28
	v_add_f32_e32 v18, v30, v39
	v_fmac_f32_e32 v40, 0x3f4f1bbd, v20
	v_fma_f32 v33, 0xbf737871, v13, -v11
	v_fma_f32 v41, 0xbf167918, v17, -v15
	v_sub_f32_e32 v24, v37, v28
	v_sub_f32_e32 v28, v30, v39
	v_mul_u32_u24_e32 v30, 9, v1
	v_fmac_f32_e32 v25, 0x3e9e377a, v22
	v_add_f32_e32 v10, v8, v21
	v_add_f32_e32 v12, v36, v23
	;; [unrolled: 1-line block ×6, first 2 shown]
	v_sub_f32_e32 v20, v8, v21
	v_sub_f32_e32 v26, v26, v38
	;; [unrolled: 1-line block ×5, first 2 shown]
	v_mad_u32_u24 v8, 0x48, v1, v5
	v_lshlrev_b32_e32 v30, 3, v30
	v_add_f32_e32 v15, v32, v25
	v_add_f32_e32 v19, v35, v41
	v_sub_f32_e32 v22, v36, v23
	v_sub_f32_e32 v23, v34, v40
	;; [unrolled: 1-line block ×3, first 2 shown]
	ds_write2_b64 v8, v[10:11], v[12:13] offset1:1
	ds_write2_b64 v8, v[14:15], v[16:17] offset0:2 offset1:3
	ds_write2_b64 v8, v[18:19], v[20:21] offset0:4 offset1:5
	;; [unrolled: 1-line block ×4, first 2 shown]
	s_waitcnt lgkmcnt(0)
	s_barrier
	buffer_gl0_inv
	s_clause 0x4
	global_load_dwordx4 v[10:13], v30, s[6:7]
	global_load_dwordx4 v[14:17], v30, s[6:7] offset:16
	global_load_dwordx4 v[18:21], v30, s[6:7] offset:32
	;; [unrolled: 1-line block ×3, first 2 shown]
	global_load_dwordx2 v[42:43], v30, s[6:7] offset:64
	ds_read2_b64 v[26:29], v5 offset0:10 offset1:20
	ds_read2_b64 v[30:33], v5 offset0:30 offset1:40
	;; [unrolled: 1-line block ×4, first 2 shown]
	ds_read_b64 v[7:8], v9
	ds_read_b64 v[44:45], v5 offset:720
	s_waitcnt vmcnt(0) lgkmcnt(0)
	s_barrier
	buffer_gl0_inv
	v_mul_f32_e32 v47, v11, v27
	v_mul_f32_e32 v48, v11, v26
	;; [unrolled: 1-line block ×14, first 2 shown]
	v_fma_f32 v26, v10, v26, -v47
	v_fmac_f32_e32 v48, v10, v27
	v_fma_f32 v10, v12, v28, -v11
	v_mul_f32_e32 v11, v41, v25
	v_fmac_f32_e32 v13, v12, v29
	v_mul_f32_e32 v12, v40, v25
	v_mul_f32_e32 v25, v45, v43
	;; [unrolled: 1-line block ×3, first 2 shown]
	v_fma_f32 v28, v14, v30, -v49
	v_fmac_f32_e32 v15, v14, v31
	v_fma_f32 v14, v16, v32, -v50
	v_fmac_f32_e32 v17, v16, v33
	;; [unrolled: 2-line block ×5, first 2 shown]
	v_fma_f32 v11, v40, v24, -v11
	v_fma_f32 v22, v44, v42, -v25
	v_fmac_f32_e32 v27, v45, v42
	v_fmac_f32_e32 v12, v41, v24
	v_add_f32_e32 v24, v7, v10
	v_sub_f32_e32 v31, v10, v14
	v_sub_f32_e32 v32, v11, v18
	;; [unrolled: 1-line block ×4, first 2 shown]
	v_add_f32_e32 v36, v8, v13
	v_add_f32_e32 v37, v17, v21
	;; [unrolled: 1-line block ×9, first 2 shown]
	v_sub_f32_e32 v29, v13, v12
	v_sub_f32_e32 v30, v17, v21
	;; [unrolled: 1-line block ×4, first 2 shown]
	v_add_f32_e32 v41, v13, v12
	v_sub_f32_e32 v13, v17, v13
	v_sub_f32_e32 v45, v15, v27
	;; [unrolled: 1-line block ×5, first 2 shown]
	v_add_f32_e32 v14, v24, v14
	v_add_f32_e32 v24, v31, v32
	;; [unrolled: 1-line block ×4, first 2 shown]
	v_fma_f32 v32, -0.5, v37, v8
	v_fma_f32 v34, -0.5, v44, v26
	;; [unrolled: 1-line block ×3, first 2 shown]
	v_sub_f32_e32 v47, v19, v23
	v_sub_f32_e32 v56, v16, v20
	;; [unrolled: 1-line block ×4, first 2 shown]
	v_add_f32_e32 v16, v43, v16
	v_fmac_f32_e32 v26, -0.5, v51
	v_add_f32_e32 v19, v54, v19
	v_fmac_f32_e32 v48, -0.5, v59
	v_add_f32_e32 v33, v10, v11
	v_sub_f32_e32 v40, v12, v21
	v_sub_f32_e32 v42, v21, v12
	v_sub_f32_e32 v50, v22, v20
	v_sub_f32_e32 v58, v27, v23
	v_add_f32_e32 v14, v14, v18
	v_add_f32_e32 v17, v17, v21
	v_fmamk_f32 v18, v45, 0x3f737871, v34
	v_fmamk_f32 v21, v28, 0xbf737871, v37
	v_sub_f32_e32 v53, v20, v22
	v_sub_f32_e32 v60, v23, v27
	v_fma_f32 v25, -0.5, v25, v7
	v_fmac_f32_e32 v8, -0.5, v41
	v_add_f32_e32 v16, v16, v20
	v_fmamk_f32 v20, v47, 0xbf737871, v26
	v_fmac_f32_e32 v26, 0x3f737871, v47
	v_add_f32_e32 v19, v19, v23
	v_fmamk_f32 v23, v56, 0x3f737871, v48
	v_fmac_f32_e32 v48, 0xbf737871, v56
	v_fmac_f32_e32 v34, 0xbf737871, v45
	;; [unrolled: 1-line block ×3, first 2 shown]
	v_sub_f32_e32 v10, v10, v11
	v_fma_f32 v7, -0.5, v33, v7
	v_add_f32_e32 v33, v39, v40
	v_add_f32_e32 v35, v49, v50
	;; [unrolled: 1-line block ×3, first 2 shown]
	v_fmac_f32_e32 v18, 0x3f167918, v47
	v_fmac_f32_e32 v21, 0xbf167918, v56
	v_add_f32_e32 v36, v52, v53
	v_add_f32_e32 v15, v15, v60
	v_fmamk_f32 v40, v29, 0x3f737871, v25
	v_fmac_f32_e32 v25, 0xbf737871, v29
	v_fmamk_f32 v43, v38, 0x3f737871, v8
	v_fmac_f32_e32 v8, 0xbf737871, v38
	v_fmac_f32_e32 v20, 0x3f167918, v45
	;; [unrolled: 1-line block ×7, first 2 shown]
	v_add_f32_e32 v13, v13, v42
	v_fmamk_f32 v42, v10, 0xbf737871, v32
	v_fmac_f32_e32 v18, 0x3e9e377a, v35
	v_fmac_f32_e32 v21, 0x3e9e377a, v39
	v_fmamk_f32 v41, v30, 0xbf737871, v7
	v_fmac_f32_e32 v7, 0x3f737871, v30
	v_add_f32_e32 v14, v14, v11
	v_fmac_f32_e32 v40, 0x3f167918, v30
	v_fmac_f32_e32 v25, 0xbf167918, v30
	v_add_f32_e32 v17, v17, v12
	v_fmac_f32_e32 v43, 0xbf167918, v10
	v_fmac_f32_e32 v8, 0x3f167918, v10
	v_add_f32_e32 v12, v16, v22
	v_add_f32_e32 v16, v19, v27
	v_fmac_f32_e32 v20, 0x3e9e377a, v36
	v_fmac_f32_e32 v26, 0x3e9e377a, v36
	;; [unrolled: 1-line block ×8, first 2 shown]
	v_mul_f32_e32 v22, 0x3f167918, v21
	v_mul_f32_e32 v27, 0xbf167918, v18
	v_fmac_f32_e32 v41, 0x3f167918, v29
	v_fmac_f32_e32 v7, 0xbf167918, v29
	;; [unrolled: 1-line block ×6, first 2 shown]
	v_add_f32_e32 v10, v14, v12
	v_add_f32_e32 v11, v17, v16
	v_sub_f32_e32 v12, v14, v12
	v_sub_f32_e32 v13, v17, v16
	v_mul_f32_e32 v24, 0x3f737871, v23
	v_mul_f32_e32 v14, 0x3e9e377a, v26
	;; [unrolled: 1-line block ×4, first 2 shown]
	v_fmac_f32_e32 v32, 0x3f167918, v38
	v_mul_f32_e32 v15, 0x3f4f1bbd, v34
	v_mul_f32_e32 v17, 0x3f4f1bbd, v37
	v_fmac_f32_e32 v42, 0x3e9e377a, v33
	v_fmac_f32_e32 v22, 0x3f4f1bbd, v18
	v_fmac_f32_e32 v27, 0x3f4f1bbd, v21
	v_fmac_f32_e32 v41, 0x3e9e377a, v31
	v_fmac_f32_e32 v7, 0x3e9e377a, v31
	v_fmac_f32_e32 v24, 0x3e9e377a, v20
	v_fma_f32 v29, 0x3f737871, v48, -v14
	v_fmac_f32_e32 v28, 0x3e9e377a, v23
	v_fma_f32 v31, 0xbf737871, v26, -v16
	v_fmac_f32_e32 v32, 0x3e9e377a, v33
	v_fma_f32 v30, 0x3f167918, v37, -v15
	v_fma_f32 v33, 0xbf167918, v34, -v17
	v_add_f32_e32 v14, v40, v22
	v_add_f32_e32 v15, v42, v27
	v_add_f32_e32 v16, v41, v24
	v_add_f32_e32 v18, v7, v29
	v_add_f32_e32 v17, v43, v28
	v_add_f32_e32 v19, v8, v31
	v_add_f32_e32 v20, v25, v30
	v_add_f32_e32 v21, v32, v33
	v_sub_f32_e32 v22, v40, v22
	v_sub_f32_e32 v24, v41, v24
	;; [unrolled: 1-line block ×8, first 2 shown]
	ds_write2_b64 v5, v[10:11], v[14:15] offset1:10
	ds_write2_b64 v5, v[16:17], v[18:19] offset0:20 offset1:30
	ds_write2_b64 v5, v[20:21], v[12:13] offset0:40 offset1:50
	;; [unrolled: 1-line block ×3, first 2 shown]
	ds_write_b64 v46, v[7:8]
	ds_write_b64 v5, v[26:27] offset:720
	s_waitcnt lgkmcnt(0)
	s_barrier
	buffer_gl0_inv
	ds_read_b64 v[7:8], v9
	v_sub_nc_u32_e32 v10, v0, v2
                                        ; implicit-def: $vgpr5
                                        ; implicit-def: $vgpr11
                                        ; implicit-def: $vgpr12
	s_and_saveexec_b32 s1, s0
	s_xor_b32 s0, exec_lo, s1
	s_cbranch_execz .LBB0_6
; %bb.5:
	v_mov_b32_e32 v2, 3
	v_lshlrev_b32_sdwa v2, v2, v6 dst_sel:DWORD dst_unused:UNUSED_PAD src0_sel:DWORD src1_sel:WORD_0
	ds_read_b64 v[5:6], v10 offset:800
	global_load_dwordx2 v[13:14], v2, s[6:7] offset:720
	s_waitcnt lgkmcnt(0)
	v_sub_f32_e32 v2, v7, v5
	v_add_f32_e32 v11, v6, v8
	v_sub_f32_e32 v6, v8, v6
	v_add_f32_e32 v5, v5, v7
	v_mul_f32_e32 v2, 0.5, v2
	v_mul_f32_e32 v7, 0.5, v11
	;; [unrolled: 1-line block ×3, first 2 shown]
	s_waitcnt vmcnt(0)
	v_mul_f32_e32 v8, v14, v2
	v_fma_f32 v12, v7, v14, v6
	v_fma_f32 v6, v7, v14, -v6
	v_fma_f32 v11, 0.5, v5, v8
	v_fma_f32 v5, v5, 0.5, -v8
	v_fma_f32 v12, -v13, v2, v12
	v_fma_f32 v6, -v13, v2, v6
	v_fmac_f32_e32 v11, v13, v7
	v_fma_f32 v5, -v13, v7, v5
                                        ; implicit-def: $vgpr7_vgpr8
.LBB0_6:
	s_andn2_saveexec_b32 s0, s0
	s_cbranch_execz .LBB0_8
; %bb.7:
	ds_read_b32 v2, v0 offset:404
	s_waitcnt lgkmcnt(1)
	v_add_f32_e32 v11, v7, v8
	v_sub_f32_e32 v5, v7, v8
	v_mov_b32_e32 v12, 0
	v_mov_b32_e32 v6, 0
	s_waitcnt lgkmcnt(0)
	v_xor_b32_e32 v2, 0x80000000, v2
	ds_write_b32 v0, v2 offset:404
.LBB0_8:
	s_or_b32 exec_lo, exec_lo, s0
	v_mov_b32_e32 v2, 0
	s_add_u32 s0, s6, 0x2d0
	s_addc_u32 s1, s7, 0
	s_waitcnt lgkmcnt(0)
	v_lshlrev_b64 v[7:8], 3, v[1:2]
	v_add_co_u32 v7, s0, s0, v7
	v_add_co_ci_u32_e64 v8, s0, s1, v8, s0
	s_clause 0x3
	global_load_dwordx2 v[13:14], v[7:8], off offset:80
	global_load_dwordx2 v[15:16], v[7:8], off offset:160
	;; [unrolled: 1-line block ×4, first 2 shown]
	ds_write2_b32 v9, v11, v12 offset1:1
	ds_write_b64 v10, v[5:6] offset:800
	ds_read_b64 v[5:6], v9 offset:80
	ds_read_b64 v[11:12], v10 offset:720
	s_waitcnt lgkmcnt(0)
	v_sub_f32_e32 v1, v5, v11
	v_add_f32_e32 v19, v6, v12
	v_sub_f32_e32 v6, v6, v12
	v_add_f32_e32 v5, v5, v11
	v_mul_f32_e32 v1, 0.5, v1
	v_mul_f32_e32 v12, 0.5, v19
	v_mul_f32_e32 v6, 0.5, v6
	s_waitcnt vmcnt(3)
	v_mul_f32_e32 v11, v14, v1
	v_fma_f32 v19, v12, v14, v6
	v_fma_f32 v6, v12, v14, -v6
	v_fma_f32 v14, 0.5, v5, v11
	v_fma_f32 v5, v5, 0.5, -v11
	v_fma_f32 v11, -v13, v1, v19
	v_fma_f32 v6, -v13, v1, v6
	v_fmac_f32_e32 v14, v13, v12
	v_fma_f32 v5, -v13, v12, v5
	ds_write2_b32 v9, v14, v11 offset0:20 offset1:21
	ds_write_b64 v10, v[5:6] offset:720
	ds_read_b64 v[5:6], v9 offset:160
	ds_read_b64 v[11:12], v10 offset:640
	s_waitcnt lgkmcnt(0)
	v_sub_f32_e32 v1, v5, v11
	v_add_f32_e32 v13, v6, v12
	v_sub_f32_e32 v6, v6, v12
	v_add_f32_e32 v5, v5, v11
	v_mul_f32_e32 v1, 0.5, v1
	v_mul_f32_e32 v12, 0.5, v13
	v_mul_f32_e32 v6, 0.5, v6
	s_waitcnt vmcnt(2)
	v_mul_f32_e32 v11, v16, v1
	v_fma_f32 v13, v12, v16, v6
	v_fma_f32 v6, v12, v16, -v6
	v_fma_f32 v14, 0.5, v5, v11
	v_fma_f32 v5, v5, 0.5, -v11
	v_fma_f32 v11, -v15, v1, v13
	v_fma_f32 v6, -v15, v1, v6
	v_fmac_f32_e32 v14, v15, v12
	v_fma_f32 v5, -v15, v12, v5
	ds_write2_b32 v9, v14, v11 offset0:40 offset1:41
	;; [unrolled: 22-line block ×4, first 2 shown]
	ds_write_b64 v10, v[5:6] offset:480
	s_waitcnt lgkmcnt(0)
	s_barrier
	buffer_gl0_inv
	s_and_saveexec_b32 s0, vcc_lo
	s_cbranch_execz .LBB0_11
; %bb.9:
	v_mad_u64_u32 v[10:11], null, s2, v4, 0
	s_load_dwordx2 s[0:1], s[4:5], 0x58
	v_add_nc_u32_e32 v1, 10, v3
	v_lshl_add_u32 v0, v3, 3, v0
	v_lshlrev_b64 v[18:19], 3, v[1:2]
	v_mov_b32_e32 v5, v11
	v_add_nc_u32_e32 v1, 20, v3
	v_mad_u64_u32 v[4:5], null, s3, v4, v[5:6]
	ds_read2_b64 v[6:9], v0 offset1:10
	v_lshlrev_b64 v[20:21], 3, v[1:2]
	v_add_nc_u32_e32 v1, 30, v3
	v_mov_b32_e32 v11, v4
	v_mov_b32_e32 v4, v2
	v_lshlrev_b64 v[26:27], 3, v[1:2]
	v_add_nc_u32_e32 v1, 40, v3
	v_lshlrev_b64 v[22:23], 3, v[10:11]
	ds_read2_b64 v[10:13], v0 offset0:20 offset1:30
	ds_read2_b64 v[14:17], v0 offset0:40 offset1:50
	v_lshlrev_b64 v[24:25], 3, v[3:4]
	s_waitcnt lgkmcnt(0)
	v_add_co_u32 v4, vcc_lo, s0, v22
	v_add_co_ci_u32_e32 v5, vcc_lo, s1, v23, vcc_lo
	v_add_co_u32 v22, vcc_lo, v4, v24
	v_add_co_ci_u32_e32 v23, vcc_lo, v5, v25, vcc_lo
	;; [unrolled: 2-line block ×3, first 2 shown]
	v_add_co_u32 v20, vcc_lo, v4, v20
	v_lshlrev_b64 v[24:25], 3, v[1:2]
	v_add_nc_u32_e32 v1, 50, v3
	v_add_co_ci_u32_e32 v21, vcc_lo, v5, v21, vcc_lo
	global_store_dwordx2 v[22:23], v[6:7], off
	global_store_dwordx2 v[18:19], v[8:9], off
	;; [unrolled: 1-line block ×3, first 2 shown]
	v_add_co_u32 v6, vcc_lo, v4, v26
	v_lshlrev_b64 v[8:9], 3, v[1:2]
	v_add_nc_u32_e32 v1, 60, v3
	v_add_co_ci_u32_e32 v7, vcc_lo, v5, v27, vcc_lo
	v_add_co_u32 v10, vcc_lo, v4, v24
	v_add_co_ci_u32_e32 v11, vcc_lo, v5, v25, vcc_lo
	v_add_co_u32 v8, vcc_lo, v4, v8
	v_lshlrev_b64 v[18:19], 3, v[1:2]
	v_add_nc_u32_e32 v1, 0x46, v3
	v_add_co_ci_u32_e32 v9, vcc_lo, v5, v9, vcc_lo
	global_store_dwordx2 v[6:7], v[12:13], off
	global_store_dwordx2 v[10:11], v[14:15], off
	;; [unrolled: 1-line block ×3, first 2 shown]
	v_lshlrev_b64 v[14:15], 3, v[1:2]
	v_add_nc_u32_e32 v1, 0x50, v3
	v_add_co_u32 v16, vcc_lo, v4, v18
	ds_read2_b64 v[6:9], v0 offset0:60 offset1:70
	v_add_co_ci_u32_e32 v17, vcc_lo, v5, v19, vcc_lo
	v_lshlrev_b64 v[18:19], 3, v[1:2]
	v_add_nc_u32_e32 v1, 0x5a, v3
	ds_read2_b64 v[10:13], v0 offset0:80 offset1:90
	v_add_co_u32 v14, vcc_lo, v4, v14
	v_add_co_ci_u32_e32 v15, vcc_lo, v5, v15, vcc_lo
	v_lshlrev_b64 v[1:2], 3, v[1:2]
	v_add_co_u32 v18, vcc_lo, v4, v18
	v_add_co_ci_u32_e32 v19, vcc_lo, v5, v19, vcc_lo
	v_add_co_u32 v1, vcc_lo, v4, v1
	v_add_co_ci_u32_e32 v2, vcc_lo, v5, v2, vcc_lo
	v_cmp_eq_u32_e32 vcc_lo, 9, v3
	s_waitcnt lgkmcnt(1)
	global_store_dwordx2 v[16:17], v[6:7], off
	global_store_dwordx2 v[14:15], v[8:9], off
	s_waitcnt lgkmcnt(0)
	global_store_dwordx2 v[18:19], v[10:11], off
	global_store_dwordx2 v[1:2], v[12:13], off
	s_and_b32 exec_lo, exec_lo, vcc_lo
	s_cbranch_execz .LBB0_11
; %bb.10:
	ds_read_b64 v[0:1], v0 offset:728
	s_waitcnt lgkmcnt(0)
	global_store_dwordx2 v[4:5], v[0:1], off offset:800
.LBB0_11:
	s_endpgm
	.section	.rodata,"a",@progbits
	.p2align	6, 0x0
	.amdhsa_kernel fft_rtc_fwd_len100_factors_10_10_wgs_190_tpt_10_halfLds_dim1_sp_op_CI_CI_unitstride_sbrr_R2C_dirReg
		.amdhsa_group_segment_fixed_size 0
		.amdhsa_private_segment_fixed_size 0
		.amdhsa_kernarg_size 96
		.amdhsa_user_sgpr_count 6
		.amdhsa_user_sgpr_private_segment_buffer 1
		.amdhsa_user_sgpr_dispatch_ptr 0
		.amdhsa_user_sgpr_queue_ptr 0
		.amdhsa_user_sgpr_kernarg_segment_ptr 1
		.amdhsa_user_sgpr_dispatch_id 0
		.amdhsa_user_sgpr_flat_scratch_init 0
		.amdhsa_user_sgpr_private_segment_size 0
		.amdhsa_wavefront_size32 1
		.amdhsa_uses_dynamic_stack 0
		.amdhsa_system_sgpr_private_segment_wavefront_offset 0
		.amdhsa_system_sgpr_workgroup_id_x 1
		.amdhsa_system_sgpr_workgroup_id_y 0
		.amdhsa_system_sgpr_workgroup_id_z 0
		.amdhsa_system_sgpr_workgroup_info 0
		.amdhsa_system_vgpr_workitem_id 0
		.amdhsa_next_free_vgpr 61
		.amdhsa_next_free_sgpr 12
		.amdhsa_reserve_vcc 1
		.amdhsa_reserve_flat_scratch 0
		.amdhsa_float_round_mode_32 0
		.amdhsa_float_round_mode_16_64 0
		.amdhsa_float_denorm_mode_32 3
		.amdhsa_float_denorm_mode_16_64 3
		.amdhsa_dx10_clamp 1
		.amdhsa_ieee_mode 1
		.amdhsa_fp16_overflow 0
		.amdhsa_workgroup_processor_mode 1
		.amdhsa_memory_ordered 1
		.amdhsa_forward_progress 0
		.amdhsa_shared_vgpr_count 0
		.amdhsa_exception_fp_ieee_invalid_op 0
		.amdhsa_exception_fp_denorm_src 0
		.amdhsa_exception_fp_ieee_div_zero 0
		.amdhsa_exception_fp_ieee_overflow 0
		.amdhsa_exception_fp_ieee_underflow 0
		.amdhsa_exception_fp_ieee_inexact 0
		.amdhsa_exception_int_div_zero 0
	.end_amdhsa_kernel
	.text
.Lfunc_end0:
	.size	fft_rtc_fwd_len100_factors_10_10_wgs_190_tpt_10_halfLds_dim1_sp_op_CI_CI_unitstride_sbrr_R2C_dirReg, .Lfunc_end0-fft_rtc_fwd_len100_factors_10_10_wgs_190_tpt_10_halfLds_dim1_sp_op_CI_CI_unitstride_sbrr_R2C_dirReg
                                        ; -- End function
	.section	.AMDGPU.csdata,"",@progbits
; Kernel info:
; codeLenInByte = 4152
; NumSgprs: 14
; NumVgprs: 61
; ScratchSize: 0
; MemoryBound: 0
; FloatMode: 240
; IeeeMode: 1
; LDSByteSize: 0 bytes/workgroup (compile time only)
; SGPRBlocks: 1
; VGPRBlocks: 7
; NumSGPRsForWavesPerEU: 14
; NumVGPRsForWavesPerEU: 61
; Occupancy: 15
; WaveLimiterHint : 1
; COMPUTE_PGM_RSRC2:SCRATCH_EN: 0
; COMPUTE_PGM_RSRC2:USER_SGPR: 6
; COMPUTE_PGM_RSRC2:TRAP_HANDLER: 0
; COMPUTE_PGM_RSRC2:TGID_X_EN: 1
; COMPUTE_PGM_RSRC2:TGID_Y_EN: 0
; COMPUTE_PGM_RSRC2:TGID_Z_EN: 0
; COMPUTE_PGM_RSRC2:TIDIG_COMP_CNT: 0
	.text
	.p2alignl 6, 3214868480
	.fill 48, 4, 3214868480
	.type	__hip_cuid_282544e81fd22f1a,@object ; @__hip_cuid_282544e81fd22f1a
	.section	.bss,"aw",@nobits
	.globl	__hip_cuid_282544e81fd22f1a
__hip_cuid_282544e81fd22f1a:
	.byte	0                               ; 0x0
	.size	__hip_cuid_282544e81fd22f1a, 1

	.ident	"AMD clang version 19.0.0git (https://github.com/RadeonOpenCompute/llvm-project roc-6.4.0 25133 c7fe45cf4b819c5991fe208aaa96edf142730f1d)"
	.section	".note.GNU-stack","",@progbits
	.addrsig
	.addrsig_sym __hip_cuid_282544e81fd22f1a
	.amdgpu_metadata
---
amdhsa.kernels:
  - .args:
      - .actual_access:  read_only
        .address_space:  global
        .offset:         0
        .size:           8
        .value_kind:     global_buffer
      - .actual_access:  read_only
        .address_space:  global
        .offset:         8
        .size:           8
        .value_kind:     global_buffer
      - .actual_access:  read_only
        .address_space:  global
        .offset:         16
        .size:           8
        .value_kind:     global_buffer
      - .actual_access:  read_only
        .address_space:  global
        .offset:         24
        .size:           8
        .value_kind:     global_buffer
      - .offset:         32
        .size:           8
        .value_kind:     by_value
      - .actual_access:  read_only
        .address_space:  global
        .offset:         40
        .size:           8
        .value_kind:     global_buffer
      - .actual_access:  read_only
        .address_space:  global
        .offset:         48
        .size:           8
        .value_kind:     global_buffer
      - .offset:         56
        .size:           4
        .value_kind:     by_value
      - .actual_access:  read_only
        .address_space:  global
        .offset:         64
        .size:           8
        .value_kind:     global_buffer
      - .actual_access:  read_only
        .address_space:  global
        .offset:         72
        .size:           8
        .value_kind:     global_buffer
      - .actual_access:  read_only
        .address_space:  global
        .offset:         80
        .size:           8
        .value_kind:     global_buffer
      - .actual_access:  write_only
        .address_space:  global
        .offset:         88
        .size:           8
        .value_kind:     global_buffer
    .group_segment_fixed_size: 0
    .kernarg_segment_align: 8
    .kernarg_segment_size: 96
    .language:       OpenCL C
    .language_version:
      - 2
      - 0
    .max_flat_workgroup_size: 190
    .name:           fft_rtc_fwd_len100_factors_10_10_wgs_190_tpt_10_halfLds_dim1_sp_op_CI_CI_unitstride_sbrr_R2C_dirReg
    .private_segment_fixed_size: 0
    .sgpr_count:     14
    .sgpr_spill_count: 0
    .symbol:         fft_rtc_fwd_len100_factors_10_10_wgs_190_tpt_10_halfLds_dim1_sp_op_CI_CI_unitstride_sbrr_R2C_dirReg.kd
    .uniform_work_group_size: 1
    .uses_dynamic_stack: false
    .vgpr_count:     61
    .vgpr_spill_count: 0
    .wavefront_size: 32
    .workgroup_processor_mode: 1
amdhsa.target:   amdgcn-amd-amdhsa--gfx1030
amdhsa.version:
  - 1
  - 2
...

	.end_amdgpu_metadata
